;; amdgpu-corpus repo=ROCm/rocFFT kind=compiled arch=gfx1201 opt=O3
	.text
	.amdgcn_target "amdgcn-amd-amdhsa--gfx1201"
	.amdhsa_code_object_version 6
	.protected	bluestein_single_back_len288_dim1_dp_op_CI_CI ; -- Begin function bluestein_single_back_len288_dim1_dp_op_CI_CI
	.globl	bluestein_single_back_len288_dim1_dp_op_CI_CI
	.p2align	8
	.type	bluestein_single_back_len288_dim1_dp_op_CI_CI,@function
bluestein_single_back_len288_dim1_dp_op_CI_CI: ; @bluestein_single_back_len288_dim1_dp_op_CI_CI
; %bb.0:
	s_load_b128 s[16:19], s[0:1], 0x28
	v_mul_u32_u24_e32 v1, 0xaab, v0
	s_mov_b32 s2, exec_lo
	s_delay_alu instid0(VALU_DEP_1) | instskip(NEXT) | instid1(VALU_DEP_1)
	v_lshrrev_b32_e32 v1, 16, v1
	v_mad_co_u64_u32 v[148:149], null, ttmp9, 5, v[1:2]
	v_mov_b32_e32 v149, 0
	s_wait_kmcnt 0x0
	s_delay_alu instid0(VALU_DEP_1)
	v_cmpx_gt_u64_e64 s[16:17], v[148:149]
	s_cbranch_execz .LBB0_2
; %bb.1:
	s_clause 0x1
	s_load_b128 s[4:7], s[0:1], 0x18
	s_load_b128 s[8:11], s[0:1], 0x0
	v_mul_lo_u16 v1, v1, 24
	v_mul_hi_u32 v145, 0xcccccccd, v148
	s_load_b64 s[0:1], s[0:1], 0x38
	s_delay_alu instid0(VALU_DEP_2) | instskip(NEXT) | instid1(VALU_DEP_2)
	v_sub_nc_u16 v124, v0, v1
	v_lshrrev_b32_e32 v145, 2, v145
	s_wait_kmcnt 0x0
	s_load_b128 s[12:15], s[4:5], 0x0
	s_wait_kmcnt 0x0
	v_mad_co_u64_u32 v[4:5], null, s14, v148, 0
	v_and_b32_e32 v151, 0xffff, v124
	s_mul_u64 s[4:5], s[12:13], 0x300
	s_mul_i32 s2, s13, 0x600
	s_mul_i32 s3, s13, 0xfffff280
	s_delay_alu instid0(VALU_DEP_2) | instskip(SKIP_4) | instid1(VALU_DEP_3)
	v_mov_b32_e32 v0, v5
	v_mad_co_u64_u32 v[8:9], null, s12, v151, 0
	v_or_b32_e32 v150, 0xc0, v151
	v_or_b32_e32 v149, 0x60, v151
	v_lshlrev_b32_e32 v154, 4, v151
	v_mad_co_u64_u32 v[28:29], null, s12, v150, 0
	v_mov_b32_e32 v1, v9
	s_delay_alu instid0(VALU_DEP_4) | instskip(NEXT) | instid1(VALU_DEP_2)
	v_mad_co_u64_u32 v[36:37], null, s12, v149, 0
	v_mad_co_u64_u32 v[2:3], null, s15, v148, v[0:1]
	s_delay_alu instid0(VALU_DEP_2) | instskip(NEXT) | instid1(VALU_DEP_2)
	v_dual_mov_b32 v12, v29 :: v_dual_mov_b32 v13, v37
	v_mad_co_u64_u32 v[6:7], null, s13, v151, v[1:2]
	v_mov_b32_e32 v5, v2
	s_delay_alu instid0(VALU_DEP_3) | instskip(SKIP_1) | instid1(VALU_DEP_3)
	v_mad_co_u64_u32 v[24:25], null, s13, v150, v[12:13]
	v_mad_co_u64_u32 v[30:31], null, s13, v149, v[13:14]
	v_lshlrev_b64_e32 v[10:11], 4, v[4:5]
	v_mov_b32_e32 v9, v6
	s_clause 0x1
	global_load_b128 v[0:3], v154, s[8:9] offset:3072
	global_load_b128 v[4:7], v154, s[8:9] offset:3840
	v_mov_b32_e32 v29, v24
	s_mov_b32 s13, 0xbfebb67a
	v_lshlrev_b64_e32 v[8:9], 4, v[8:9]
	v_add_co_u32 v48, vcc_lo, s18, v10
	v_add_co_ci_u32_e32 v49, vcc_lo, s19, v11, vcc_lo
	v_mov_b32_e32 v37, v30
	s_delay_alu instid0(VALU_DEP_3) | instskip(SKIP_1) | instid1(VALU_DEP_3)
	v_add_co_u32 v40, vcc_lo, v48, v8
	s_wait_alu 0xfffd
	v_add_co_ci_u32_e32 v41, vcc_lo, v49, v9, vcc_lo
	v_lshlrev_b64_e32 v[38:39], 4, v[28:29]
	s_delay_alu instid0(VALU_DEP_3) | instskip(SKIP_1) | instid1(VALU_DEP_3)
	v_add_co_u32 v42, vcc_lo, v40, s4
	s_wait_alu 0xfffd
	v_add_co_ci_u32_e32 v43, vcc_lo, s5, v41, vcc_lo
	v_lshlrev_b64_e32 v[36:37], 4, v[36:37]
	s_delay_alu instid0(VALU_DEP_4) | instskip(NEXT) | instid1(VALU_DEP_3)
	v_add_co_u32 v52, vcc_lo, v48, v38
	v_mad_co_u64_u32 v[44:45], null, 0x600, s12, v[42:43]
	s_wait_alu 0xfffd
	v_add_co_ci_u32_e32 v53, vcc_lo, v49, v39, vcc_lo
	s_clause 0x4
	global_load_b128 v[8:11], v154, s[8:9]
	global_load_b128 v[12:15], v154, s[8:9] offset:384
	global_load_b128 v[20:23], v154, s[8:9] offset:768
	;; [unrolled: 1-line block ×4, first 2 shown]
	v_add_nc_u32_e32 v45, s2, v45
	s_clause 0x1
	global_load_b128 v[28:31], v154, s[8:9] offset:1920
	global_load_b128 v[32:35], v154, s[8:9] offset:2304
	v_mad_co_u64_u32 v[46:47], null, 0x600, s12, v[44:45]
	s_delay_alu instid0(VALU_DEP_1) | instskip(SKIP_3) | instid1(VALU_DEP_3)
	v_add_nc_u32_e32 v47, s2, v47
	v_add_co_u32 v56, s2, v48, v36
	s_wait_alu 0xf1ff
	v_add_co_ci_u32_e64 v57, vcc_lo, v49, v37, s2
	v_mad_co_u64_u32 v[72:73], null, 0xfffff280, s12, v[46:47]
	s_sub_co_i32 s2, s3, s12
	global_load_b128 v[36:39], v154, s[8:9] offset:2688
	s_clause 0x5
	global_load_b128 v[48:51], v[40:41], off
	global_load_b128 v[52:55], v[52:53], off
	;; [unrolled: 1-line block ×6, first 2 shown]
	s_wait_alu 0xfffe
	v_add_nc_u32_e32 v73, s2, v73
	v_add_co_u32 v40, vcc_lo, v72, s4
	s_mov_b32 s2, 0xe8584caa
	s_mov_b32 s3, 0x3febb67a
	s_wait_alu 0xfffd
	v_add_co_ci_u32_e32 v41, vcc_lo, s5, v73, vcc_lo
	v_add_co_u32 v42, vcc_lo, v40, s4
	global_load_b128 v[72:75], v[72:73], off
	s_wait_alu 0xfffd
	v_add_co_ci_u32_e32 v43, vcc_lo, s5, v41, vcc_lo
	v_add_co_u32 v44, vcc_lo, v42, s4
	global_load_b128 v[76:79], v[40:41], off
	;; [unrolled: 4-line block ×3, first 2 shown]
	s_wait_alu 0xfffd
	v_add_co_ci_u32_e32 v47, vcc_lo, s5, v45, vcc_lo
	v_add_co_u32 v92, vcc_lo, v46, s4
	s_wait_alu 0xfffe
	s_mov_b32 s12, s2
	s_wait_alu 0xfffd
	v_add_co_ci_u32_e32 v93, vcc_lo, s5, v47, vcc_lo
	global_load_b128 v[84:87], v[44:45], off
	global_load_b128 v[40:43], v154, s[8:9] offset:3456
	global_load_b128 v[88:91], v[46:47], off
	global_load_b128 v[44:47], v154, s[8:9] offset:4224
	global_load_b128 v[92:95], v[92:93], off
	s_load_b128 s[4:7], s[6:7], 0x0
	v_cmp_gt_u16_e32 vcc_lo, 12, v124
	s_wait_loadcnt 0xd
	v_mul_f64_e32 v[96:97], v[50:51], v[10:11]
	v_mul_f64_e32 v[98:99], v[48:49], v[10:11]
	s_wait_loadcnt 0xb
	v_mul_f64_e32 v[104:105], v[58:59], v[26:27]
	v_mul_f64_e32 v[106:107], v[56:57], v[26:27]
	;; [unrolled: 1-line block ×4, first 2 shown]
	s_wait_loadcnt 0xa
	v_mul_f64_e32 v[108:109], v[62:63], v[22:23]
	v_mul_f64_e32 v[110:111], v[60:61], v[22:23]
	s_wait_loadcnt 0x9
	v_mul_f64_e32 v[112:113], v[66:67], v[34:35]
	v_mul_f64_e32 v[114:115], v[64:65], v[34:35]
	;; [unrolled: 3-line block ×9, first 2 shown]
	v_fma_f64 v[48:49], v[48:49], v[8:9], v[96:97]
	v_fma_f64 v[50:51], v[50:51], v[8:9], -v[98:99]
	v_fma_f64 v[56:57], v[56:57], v[24:25], v[104:105]
	v_fma_f64 v[58:59], v[58:59], v[24:25], -v[106:107]
	;; [unrolled: 2-line block ×6, first 2 shown]
	v_lshl_add_u32 v96, v145, 2, v145
	v_fma_f64 v[72:73], v[72:73], v[12:13], v[120:121]
	v_fma_f64 v[74:75], v[74:75], v[12:13], -v[122:123]
	s_delay_alu instid0(VALU_DEP_3) | instskip(SKIP_2) | instid1(VALU_DEP_3)
	v_sub_nc_u32_e32 v96, v148, v96
	v_fma_f64 v[76:77], v[76:77], v[16:17], v[125:126]
	v_fma_f64 v[78:79], v[78:79], v[16:17], -v[127:128]
	v_mul_u32_u24_e32 v125, 0x120, v96
	v_fma_f64 v[80:81], v[80:81], v[28:29], v[129:130]
	v_fma_f64 v[82:83], v[82:83], v[28:29], -v[131:132]
	s_delay_alu instid0(VALU_DEP_3)
	v_or_b32_e32 v96, v125, v151
	v_lshl_add_u32 v152, v125, 4, v154
	v_fma_f64 v[84:85], v[84:85], v[36:37], v[133:134]
	v_fma_f64 v[86:87], v[86:87], v[36:37], -v[135:136]
	v_fma_f64 v[88:89], v[88:89], v[40:41], v[137:138]
	v_fma_f64 v[90:91], v[90:91], v[40:41], -v[139:140]
	;; [unrolled: 2-line block ×3, first 2 shown]
	v_lshlrev_b32_e32 v153, 4, v96
	ds_store_b128 v153, v[48:51]
	ds_store_b128 v152, v[56:59] offset:1536
	ds_store_b128 v152, v[52:55] offset:3072
	;; [unrolled: 1-line block ×11, first 2 shown]
	global_wb scope:SCOPE_SE
	s_wait_dscnt 0x0
	s_wait_kmcnt 0x0
	s_barrier_signal -1
	s_barrier_wait -1
	global_inv scope:SCOPE_SE
	ds_load_b128 v[48:51], v152 offset:3840
	ds_load_b128 v[52:55], v152 offset:2304
	;; [unrolled: 1-line block ×6, first 2 shown]
	s_wait_dscnt 0x4
	v_add_f64_e32 v[72:73], v[54:55], v[50:51]
	v_add_f64_e32 v[74:75], v[52:53], v[48:49]
	s_wait_dscnt 0x2
	v_add_f64_e32 v[76:77], v[58:59], v[62:63]
	v_add_f64_e32 v[78:79], v[56:57], v[60:61]
	v_add_f64_e64 v[88:89], v[54:55], -v[50:51]
	v_add_f64_e64 v[90:91], v[52:53], -v[48:49]
	;; [unrolled: 1-line block ×4, first 2 shown]
	s_wait_dscnt 0x1
	v_add_f64_e32 v[52:53], v[64:65], v[52:53]
	v_add_f64_e32 v[54:55], v[66:67], v[54:55]
	s_wait_dscnt 0x0
	v_add_f64_e32 v[56:57], v[68:69], v[56:57]
	v_add_f64_e32 v[58:59], v[70:71], v[58:59]
	v_fma_f64 v[92:93], v[72:73], -0.5, v[66:67]
	v_fma_f64 v[94:95], v[74:75], -0.5, v[64:65]
	;; [unrolled: 1-line block ×4, first 2 shown]
	ds_load_b128 v[72:75], v152 offset:3072
	ds_load_b128 v[76:79], v152 offset:1536
	ds_load_b128 v[80:83], v152 offset:1920
	ds_load_b128 v[84:87], v152 offset:3456
	v_add_f64_e32 v[52:53], v[52:53], v[48:49]
	v_add_f64_e32 v[54:55], v[54:55], v[50:51]
	;; [unrolled: 1-line block ×4, first 2 shown]
	v_and_b32_e32 v48, 0xff, v124
	s_delay_alu instid0(VALU_DEP_1)
	v_mul_lo_u16 v48, 0xab, v48
	s_wait_dscnt 0x2
	v_add_f64_e32 v[104:105], v[76:77], v[72:73]
	v_add_f64_e32 v[106:107], v[78:79], v[74:75]
	s_wait_dscnt 0x0
	v_add_f64_e32 v[116:117], v[80:81], v[84:85]
	v_add_f64_e32 v[118:119], v[82:83], v[86:87]
	v_add_f64_e64 v[70:71], v[76:77], -v[72:73]
	v_fma_f64 v[108:109], v[90:91], s[12:13], v[92:93]
	v_fma_f64 v[112:113], v[88:89], s[2:3], v[94:95]
	;; [unrolled: 1-line block ×8, first 2 shown]
	ds_load_b128 v[88:91], v153
	ds_load_b128 v[92:95], v152 offset:384
	v_add_f64_e64 v[102:103], v[78:79], -v[74:75]
	global_wb scope:SCOPE_SE
	s_wait_dscnt 0x0
	s_barrier_signal -1
	s_barrier_wait -1
	global_inv scope:SCOPE_SE
	v_add_f64_e32 v[100:101], v[88:89], v[76:77]
	v_add_f64_e32 v[78:79], v[90:91], v[78:79]
	;; [unrolled: 1-line block ×4, first 2 shown]
	v_fma_f64 v[68:69], v[104:105], -0.5, v[88:89]
	v_fma_f64 v[76:77], v[106:107], -0.5, v[90:91]
	v_add_f64_e64 v[82:83], v[82:83], -v[86:87]
	v_fma_f64 v[92:93], v[116:117], -0.5, v[92:93]
	v_add_f64_e64 v[80:81], v[80:81], -v[84:85]
	v_fma_f64 v[94:95], v[118:119], -0.5, v[94:95]
	v_mul_f64_e32 v[88:89], s[2:3], v[108:109]
	v_mul_f64_e32 v[104:105], s[12:13], v[112:113]
	v_mul_f64_e32 v[90:91], -0.5, v[110:111]
	v_mul_f64_e32 v[106:107], -0.5, v[114:115]
	v_mul_f64_e32 v[116:117], s[2:3], v[120:121]
	v_mul_f64_e32 v[118:119], -0.5, v[122:123]
	v_mul_f64_e32 v[126:127], s[12:13], v[96:97]
	v_mul_f64_e32 v[128:129], -0.5, v[98:99]
	v_add_f64_e32 v[72:73], v[100:101], v[72:73]
	v_add_f64_e32 v[74:75], v[78:79], v[74:75]
	;; [unrolled: 1-line block ×4, first 2 shown]
	v_fma_f64 v[78:79], v[102:103], s[2:3], v[68:69]
	v_fma_f64 v[84:85], v[102:103], s[12:13], v[68:69]
	;; [unrolled: 1-line block ×4, first 2 shown]
	v_fma_f64 v[76:77], v[112:113], 0.5, v[88:89]
	v_fma_f64 v[102:103], v[108:109], 0.5, v[104:105]
	v_fma_f64 v[90:91], v[114:115], s[2:3], v[90:91]
	v_fma_f64 v[104:105], v[110:111], s[12:13], v[106:107]
	v_fma_f64 v[106:107], v[82:83], s[2:3], v[92:93]
	v_fma_f64 v[108:109], v[82:83], s[12:13], v[92:93]
	v_fma_f64 v[110:111], v[80:81], s[12:13], v[94:95]
	v_fma_f64 v[92:93], v[96:97], 0.5, v[116:117]
	v_fma_f64 v[114:115], v[120:121], 0.5, v[126:127]
	v_fma_f64 v[112:113], v[80:81], s[2:3], v[94:95]
	v_fma_f64 v[95:96], v[98:99], s[2:3], v[118:119]
	;; [unrolled: 1-line block ×3, first 2 shown]
	v_add_co_u32 v88, null, v151, 24
	v_lshrrev_b16 v89, 10, v48
	s_delay_alu instid0(VALU_DEP_2) | instskip(NEXT) | instid1(VALU_DEP_1)
	v_and_b32_e32 v49, 0xff, v88
	v_mul_lo_u16 v118, 0xab, v49
	v_add_f64_e32 v[48:49], v[72:73], v[52:53]
	v_add_f64_e32 v[50:51], v[74:75], v[54:55]
	v_add_f64_e64 v[52:53], v[72:73], -v[52:53]
	v_add_f64_e64 v[54:55], v[74:75], -v[54:55]
	v_add_f64_e32 v[56:57], v[64:65], v[60:61]
	v_add_f64_e32 v[58:59], v[66:67], v[62:63]
	v_add_f64_e64 v[60:61], v[64:65], -v[60:61]
	v_add_f64_e64 v[62:63], v[66:67], -v[62:63]
	v_add_f64_e32 v[64:65], v[78:79], v[76:77]
	v_add_f64_e32 v[66:67], v[86:87], v[102:103]
	v_add_f64_e32 v[68:69], v[84:85], v[90:91]
	v_add_f64_e32 v[70:71], v[100:101], v[104:105]
	v_add_f64_e64 v[72:73], v[78:79], -v[76:77]
	v_add_f64_e64 v[74:75], v[86:87], -v[102:103]
	;; [unrolled: 1-line block ×4, first 2 shown]
	v_add_f64_e32 v[80:81], v[106:107], v[92:93]
	v_add_f64_e32 v[82:83], v[110:111], v[114:115]
	;; [unrolled: 1-line block ×4, first 2 shown]
	v_add_f64_e64 v[93:94], v[106:107], -v[92:93]
	v_add_f64_e64 v[97:98], v[108:109], -v[95:96]
	;; [unrolled: 1-line block ×4, first 2 shown]
	v_lshrrev_b16 v90, 10, v118
	v_mul_lo_u16 v91, v89, 6
	v_mul_lo_u16 v101, v124, 6
	s_delay_alu instid0(VALU_DEP_3) | instskip(NEXT) | instid1(VALU_DEP_3)
	v_mul_lo_u16 v102, v90, 6
	v_sub_nc_u16 v92, v124, v91
	s_delay_alu instid0(VALU_DEP_3) | instskip(SKIP_1) | instid1(VALU_DEP_4)
	v_and_b32_e32 v91, 0xffff, v101
	v_and_b32_e32 v90, 0xffff, v90
	v_sub_nc_u16 v101, v88, v102
	v_mul_u32_u24_e32 v102, 6, v88
	v_and_b32_e32 v103, 0xff, v92
	v_add_lshl_u32 v156, v125, v91, 4
	s_delay_alu instid0(VALU_DEP_4) | instskip(NEXT) | instid1(VALU_DEP_4)
	v_and_b32_e32 v91, 0xff, v101
	v_add_lshl_u32 v155, v125, v102, 4
	s_delay_alu instid0(VALU_DEP_4)
	v_mad_co_u64_u32 v[101:102], null, 0x50, v103, s[10:11]
	ds_store_b128 v156, v[48:51]
	ds_store_b128 v156, v[52:55] offset:48
	ds_store_b128 v156, v[64:67] offset:16
	;; [unrolled: 1-line block ×5, first 2 shown]
	ds_store_b128 v155, v[56:59]
	ds_store_b128 v155, v[80:83] offset:16
	ds_store_b128 v155, v[84:87] offset:32
	;; [unrolled: 1-line block ×5, first 2 shown]
	v_mad_co_u64_u32 v[103:104], null, 0x50, v91, s[10:11]
	global_wb scope:SCOPE_SE
	s_wait_dscnt 0x0
	s_barrier_signal -1
	s_barrier_wait -1
	global_inv scope:SCOPE_SE
	s_clause 0x9
	global_load_b128 v[76:79], v[101:102], off offset:32
	global_load_b128 v[80:83], v[101:102], off offset:64
	;; [unrolled: 1-line block ×4, first 2 shown]
	global_load_b128 v[60:63], v[101:102], off
	global_load_b128 v[48:51], v[103:104], off
	global_load_b128 v[68:71], v[101:102], off offset:16
	global_load_b128 v[64:67], v[101:102], off offset:48
	;; [unrolled: 1-line block ×4, first 2 shown]
	ds_load_b128 v[93:96], v152 offset:2304
	ds_load_b128 v[97:100], v152 offset:3840
	;; [unrolled: 1-line block ×6, first 2 shown]
	s_wait_loadcnt_dscnt 0x905
	v_mul_f64_e32 v[117:118], v[95:96], v[78:79]
	v_mul_f64_e32 v[119:120], v[93:94], v[78:79]
	s_wait_loadcnt_dscnt 0x804
	v_mul_f64_e32 v[121:122], v[97:98], v[82:83]
	v_mul_f64_e32 v[126:127], v[99:100], v[82:83]
	s_wait_loadcnt_dscnt 0x703
	v_mul_f64_e32 v[128:129], v[103:104], v[74:75]
	v_mul_f64_e32 v[130:131], v[101:102], v[74:75]
	s_wait_loadcnt_dscnt 0x602
	v_mul_f64_e32 v[132:133], v[105:106], v[86:87]
	v_mul_f64_e32 v[134:135], v[107:108], v[86:87]
	s_wait_loadcnt_dscnt 0x501
	v_mul_f64_e32 v[136:137], v[111:112], v[62:63]
	v_mul_f64_e32 v[138:139], v[109:110], v[62:63]
	s_wait_loadcnt_dscnt 0x400
	v_mul_f64_e32 v[140:141], v[115:116], v[50:51]
	v_mul_f64_e32 v[142:143], v[113:114], v[50:51]
	v_fma_f64 v[117:118], v[93:94], v[76:77], -v[117:118]
	v_fma_f64 v[119:120], v[95:96], v[76:77], v[119:120]
	v_fma_f64 v[121:122], v[99:100], v[80:81], v[121:122]
	v_fma_f64 v[126:127], v[97:98], v[80:81], -v[126:127]
	v_fma_f64 v[128:129], v[101:102], v[72:73], -v[128:129]
	v_fma_f64 v[130:131], v[103:104], v[72:73], v[130:131]
	v_fma_f64 v[132:133], v[107:108], v[84:85], v[132:133]
	v_fma_f64 v[134:135], v[105:106], v[84:85], -v[134:135]
	ds_load_b128 v[93:96], v152 offset:1536
	ds_load_b128 v[97:100], v152 offset:3072
	;; [unrolled: 1-line block ×4, first 2 shown]
	v_fma_f64 v[109:110], v[109:110], v[60:61], -v[136:137]
	v_fma_f64 v[111:112], v[111:112], v[60:61], v[138:139]
	v_fma_f64 v[113:114], v[113:114], v[48:49], -v[140:141]
	v_fma_f64 v[115:116], v[115:116], v[48:49], v[142:143]
	s_wait_loadcnt_dscnt 0x303
	v_mul_f64_e32 v[144:145], v[95:96], v[70:71]
	v_mul_f64_e32 v[146:147], v[93:94], v[70:71]
	s_wait_loadcnt_dscnt 0x202
	v_mul_f64_e32 v[157:158], v[99:100], v[66:67]
	v_mul_f64_e32 v[159:160], v[97:98], v[66:67]
	;; [unrolled: 3-line block ×4, first 2 shown]
	v_add_f64_e32 v[136:137], v[119:120], v[121:122]
	v_add_f64_e32 v[138:139], v[117:118], v[126:127]
	;; [unrolled: 1-line block ×4, first 2 shown]
	v_fma_f64 v[144:145], v[93:94], v[68:69], -v[144:145]
	v_fma_f64 v[146:147], v[95:96], v[68:69], v[146:147]
	v_fma_f64 v[157:158], v[97:98], v[64:65], -v[157:158]
	v_fma_f64 v[159:160], v[99:100], v[64:65], v[159:160]
	v_add_f64_e64 v[93:94], v[119:120], -v[121:122]
	v_add_f64_e64 v[95:96], v[117:118], -v[126:127]
	v_fma_f64 v[101:102], v[101:102], v[56:57], -v[161:162]
	v_fma_f64 v[103:104], v[103:104], v[56:57], v[163:164]
	v_fma_f64 v[105:106], v[105:106], v[52:53], -v[165:166]
	v_fma_f64 v[107:108], v[107:108], v[52:53], v[167:168]
	v_fma_f64 v[97:98], v[136:137], -0.5, v[111:112]
	v_fma_f64 v[99:100], v[138:139], -0.5, v[109:110]
	v_add_f64_e64 v[136:137], v[130:131], -v[132:133]
	v_add_f64_e64 v[138:139], v[128:129], -v[134:135]
	v_fma_f64 v[140:141], v[140:141], -0.5, v[115:116]
	v_fma_f64 v[142:143], v[142:143], -0.5, v[113:114]
	v_add_f64_e32 v[109:110], v[109:110], v[117:118]
	v_add_f64_e32 v[111:112], v[111:112], v[119:120]
	;; [unrolled: 1-line block ×6, first 2 shown]
	v_add_f64_e64 v[128:129], v[144:145], -v[157:158]
	v_add_f64_e32 v[173:174], v[101:102], v[105:106]
	v_add_f64_e32 v[175:176], v[103:104], v[107:108]
	v_fma_f64 v[165:166], v[95:96], s[12:13], v[97:98]
	v_fma_f64 v[169:170], v[93:94], s[2:3], v[99:100]
	v_fma_f64 v[167:168], v[93:94], s[12:13], v[99:100]
	v_fma_f64 v[171:172], v[95:96], s[2:3], v[97:98]
	v_fma_f64 v[177:178], v[138:139], s[12:13], v[140:141]
	v_fma_f64 v[179:180], v[136:137], s[12:13], v[142:143]
	v_fma_f64 v[136:137], v[136:137], s[2:3], v[142:143]
	v_fma_f64 v[138:139], v[138:139], s[2:3], v[140:141]
	ds_load_b128 v[93:96], v153
	ds_load_b128 v[97:100], v152 offset:384
	v_add_f64_e64 v[142:143], v[146:147], -v[159:160]
	v_add_f64_e32 v[109:110], v[109:110], v[126:127]
	v_add_f64_e32 v[111:112], v[111:112], v[121:122]
	;; [unrolled: 1-line block ×4, first 2 shown]
	global_wb scope:SCOPE_SE
	s_wait_dscnt 0x0
	s_barrier_signal -1
	s_barrier_wait -1
	global_inv scope:SCOPE_SE
	v_add_f64_e32 v[140:141], v[93:94], v[144:145]
	v_add_f64_e32 v[146:147], v[95:96], v[146:147]
	v_add_f64_e32 v[117:118], v[97:98], v[101:102]
	v_fma_f64 v[93:94], v[161:162], -0.5, v[93:94]
	v_fma_f64 v[95:96], v[163:164], -0.5, v[95:96]
	v_add_f64_e32 v[119:120], v[99:100], v[103:104]
	v_add_f64_e64 v[103:104], v[103:104], -v[107:108]
	v_fma_f64 v[97:98], v[173:174], -0.5, v[97:98]
	v_add_f64_e64 v[101:102], v[101:102], -v[105:106]
	v_fma_f64 v[99:100], v[175:176], -0.5, v[99:100]
	v_mul_f64_e32 v[130:131], s[2:3], v[165:166]
	v_mul_f64_e32 v[161:162], s[12:13], v[169:170]
	v_mul_f64_e32 v[144:145], -0.5, v[167:168]
	v_mul_f64_e32 v[163:164], -0.5, v[171:172]
	v_mul_f64_e32 v[173:174], s[2:3], v[177:178]
	v_mul_f64_e32 v[175:176], -0.5, v[179:180]
	v_mul_f64_e32 v[181:182], s[12:13], v[136:137]
	v_mul_f64_e32 v[183:184], -0.5, v[138:139]
	v_add_f64_e32 v[140:141], v[140:141], v[157:158]
	v_add_f64_e32 v[146:147], v[146:147], v[159:160]
	v_add_f64_e32 v[105:106], v[117:118], v[105:106]
	v_fma_f64 v[117:118], v[142:143], s[2:3], v[93:94]
	v_fma_f64 v[121:122], v[128:129], s[12:13], v[95:96]
	v_add_f64_e32 v[107:108], v[119:120], v[107:108]
	v_fma_f64 v[119:120], v[142:143], s[12:13], v[93:94]
	v_fma_f64 v[128:129], v[128:129], s[2:3], v[95:96]
	;; [unrolled: 1-line block ×4, first 2 shown]
	v_fma_f64 v[126:127], v[169:170], 0.5, v[130:131]
	v_fma_f64 v[132:133], v[165:166], 0.5, v[161:162]
	v_fma_f64 v[130:131], v[171:172], s[2:3], v[144:145]
	v_fma_f64 v[134:135], v[167:168], s[12:13], v[163:164]
	v_fma_f64 v[161:162], v[136:137], 0.5, v[173:174]
	v_fma_f64 v[144:145], v[103:104], s[12:13], v[97:98]
	v_fma_f64 v[165:166], v[177:178], 0.5, v[181:182]
	v_fma_f64 v[159:160], v[101:102], s[2:3], v[99:100]
	v_fma_f64 v[163:164], v[138:139], s[2:3], v[175:176]
	;; [unrolled: 1-line block ×3, first 2 shown]
	v_add_f64_e32 v[93:94], v[140:141], v[109:110]
	v_add_f64_e32 v[95:96], v[146:147], v[111:112]
	v_add_f64_e64 v[97:98], v[140:141], -v[109:110]
	v_add_f64_e64 v[99:100], v[146:147], -v[111:112]
	v_add_f64_e32 v[101:102], v[105:106], v[113:114]
	v_add_f64_e32 v[103:104], v[107:108], v[115:116]
	v_add_f64_e64 v[105:106], v[105:106], -v[113:114]
	v_add_f64_e64 v[107:108], v[107:108], -v[115:116]
	v_mad_co_u64_u32 v[146:147], null, v151, 48, s[10:11]
	v_add_f64_e32 v[109:110], v[117:118], v[126:127]
	v_add_f64_e32 v[111:112], v[121:122], v[132:133]
	;; [unrolled: 1-line block ×4, first 2 shown]
	v_add_f64_e64 v[117:118], v[117:118], -v[126:127]
	v_add_f64_e64 v[126:127], v[119:120], -v[130:131]
	;; [unrolled: 1-line block ×4, first 2 shown]
	v_add_f64_e32 v[130:131], v[142:143], v[161:162]
	v_add_f64_e32 v[132:133], v[157:158], v[165:166]
	;; [unrolled: 1-line block ×4, first 2 shown]
	v_add_f64_e64 v[138:139], v[142:143], -v[161:162]
	v_add_f64_e64 v[140:141], v[157:158], -v[165:166]
	;; [unrolled: 1-line block ×4, first 2 shown]
	v_add_nc_u32_e32 v121, -12, v151
	s_wait_alu 0xfffd
	s_delay_alu instid0(VALU_DEP_1) | instskip(SKIP_2) | instid1(VALU_DEP_3)
	v_cndmask_b32_e32 v157, v121, v88, vcc_lo
	v_mad_u16 v88, v89, 36, v92
	v_mul_u32_u24_e32 v89, 36, v90
	v_mul_i32_i24_e32 v90, 48, v157
	s_delay_alu instid0(VALU_DEP_3) | instskip(NEXT) | instid1(VALU_DEP_3)
	v_and_b32_e32 v88, 0xff, v88
	v_add_nc_u32_e32 v89, v89, v91
	v_mul_hi_i32_i24_e32 v91, 48, v157
	s_delay_alu instid0(VALU_DEP_4) | instskip(NEXT) | instid1(VALU_DEP_4)
	v_add_co_u32 v121, vcc_lo, s10, v90
	v_add_lshl_u32 v159, v125, v88, 4
	s_delay_alu instid0(VALU_DEP_4)
	v_add_lshl_u32 v158, v125, v89, 4
	ds_store_b128 v159, v[93:96]
	ds_store_b128 v159, v[97:100] offset:288
	ds_store_b128 v159, v[109:112] offset:96
	;; [unrolled: 1-line block ×5, first 2 shown]
	ds_store_b128 v158, v[101:104]
	ds_store_b128 v158, v[130:133] offset:96
	ds_store_b128 v158, v[134:137] offset:192
	;; [unrolled: 1-line block ×5, first 2 shown]
	global_wb scope:SCOPE_SE
	s_wait_dscnt 0x0
	s_barrier_signal -1
	s_barrier_wait -1
	global_inv scope:SCOPE_SE
	global_load_b128 v[96:99], v[146:147], off offset:480
	s_wait_alu 0xfffd
	v_add_co_ci_u32_e32 v122, vcc_lo, s11, v91, vcc_lo
	s_clause 0x7
	global_load_b128 v[92:95], v[146:147], off offset:496
	global_load_b128 v[88:91], v[146:147], off offset:512
	;; [unrolled: 1-line block ×8, first 2 shown]
	ds_load_b128 v[126:129], v152 offset:1152
	ds_load_b128 v[130:133], v152 offset:2304
	;; [unrolled: 1-line block ×9, first 2 shown]
	v_cmp_lt_u16_e32 vcc_lo, 11, v124
	s_wait_alu 0xfffd
	v_cndmask_b32_e64 v124, 0, 0x90, vcc_lo
	s_delay_alu instid0(VALU_DEP_1) | instskip(NEXT) | instid1(VALU_DEP_1)
	v_add_nc_u32_e32 v124, v157, v124
	v_add_lshl_u32 v157, v125, v124, 4
	s_wait_loadcnt_dscnt 0x707
	v_mul_f64_e32 v[178:179], v[132:133], v[94:95]
	v_mul_f64_e32 v[180:181], v[130:131], v[94:95]
	s_wait_loadcnt_dscnt 0x606
	v_mul_f64_e32 v[182:183], v[136:137], v[90:91]
	v_mul_f64_e32 v[146:147], v[128:129], v[98:99]
	v_mul_f64_e32 v[176:177], v[126:127], v[98:99]
	v_mul_f64_e32 v[184:185], v[134:135], v[90:91]
	s_wait_loadcnt_dscnt 0x505
	v_mul_f64_e32 v[186:187], v[140:141], v[110:111]
	v_mul_f64_e32 v[188:189], v[138:139], v[110:111]
	s_wait_loadcnt_dscnt 0x404
	v_mul_f64_e32 v[190:191], v[144:145], v[106:107]
	v_mul_f64_e32 v[192:193], v[142:143], v[106:107]
	;; [unrolled: 3-line block ×6, first 2 shown]
	v_fma_f64 v[178:179], v[130:131], v[92:93], -v[178:179]
	v_fma_f64 v[180:181], v[132:133], v[92:93], v[180:181]
	v_fma_f64 v[182:183], v[134:135], v[88:89], -v[182:183]
	v_fma_f64 v[146:147], v[126:127], v[96:97], -v[146:147]
	v_fma_f64 v[176:177], v[128:129], v[96:97], v[176:177]
	v_fma_f64 v[184:185], v[136:137], v[88:89], v[184:185]
	v_fma_f64 v[138:139], v[138:139], v[108:109], -v[186:187]
	v_fma_f64 v[140:141], v[140:141], v[108:109], v[188:189]
	v_fma_f64 v[142:143], v[142:143], v[104:105], -v[190:191]
	;; [unrolled: 2-line block ×6, first 2 shown]
	v_fma_f64 v[174:175], v[174:175], v[112:113], v[208:209]
	ds_load_b128 v[126:129], v153
	ds_load_b128 v[130:133], v152 offset:384
	ds_load_b128 v[134:137], v152 offset:768
	global_wb scope:SCOPE_SE
	s_wait_dscnt 0x0
	s_barrier_signal -1
	s_barrier_wait -1
	global_inv scope:SCOPE_SE
	v_add_f64_e64 v[178:179], v[126:127], -v[178:179]
	v_add_f64_e64 v[180:181], v[128:129], -v[180:181]
	;; [unrolled: 1-line block ×12, first 2 shown]
	v_fma_f64 v[170:171], v[126:127], 2.0, -v[178:179]
	v_fma_f64 v[172:173], v[128:129], 2.0, -v[180:181]
	;; [unrolled: 1-line block ×4, first 2 shown]
	v_add_f64_e64 v[126:127], v[178:179], -v[184:185]
	v_fma_f64 v[174:175], v[130:131], 2.0, -v[186:187]
	v_fma_f64 v[194:195], v[132:133], 2.0, -v[188:189]
	;; [unrolled: 1-line block ×8, first 2 shown]
	v_add_f64_e64 v[134:135], v[186:187], -v[144:145]
	v_add_f64_e32 v[136:137], v[188:189], v[142:143]
	v_add_f64_e64 v[142:143], v[190:191], -v[160:161]
	v_add_f64_e32 v[144:145], v[192:193], v[168:169]
	;; [unrolled: 2-line block ×3, first 2 shown]
	v_add_f64_e64 v[132:133], v[172:173], -v[146:147]
	v_add_f64_e64 v[138:139], v[174:175], -v[138:139]
	v_add_f64_e64 v[140:141], v[194:195], -v[140:141]
	v_add_f64_e64 v[160:161], v[196:197], -v[162:163]
	v_add_f64_e64 v[162:163], v[198:199], -v[164:165]
	v_fma_f64 v[164:165], v[178:179], 2.0, -v[126:127]
	v_fma_f64 v[182:183], v[192:193], 2.0, -v[144:145]
	;; [unrolled: 1-line block ×12, first 2 shown]
	ds_store_b128 v153, v[168:171]
	ds_store_b128 v152, v[164:167] offset:576
	ds_store_b128 v152, v[130:133] offset:1152
	ds_store_b128 v152, v[126:129] offset:1728
	ds_store_b128 v157, v[176:179]
	ds_store_b128 v157, v[172:175] offset:576
	ds_store_b128 v157, v[138:141] offset:1152
	;; [unrolled: 1-line block ×7, first 2 shown]
	global_wb scope:SCOPE_SE
	s_wait_dscnt 0x0
	s_barrier_signal -1
	s_barrier_wait -1
	global_inv scope:SCOPE_SE
	s_clause 0x5
	global_load_b128 v[124:127], v154, s[10:11] offset:2208
	global_load_b128 v[128:131], v154, s[10:11] offset:2592
	global_load_b128 v[132:135], v154, s[10:11] offset:2976
	global_load_b128 v[136:139], v154, s[10:11] offset:3360
	global_load_b128 v[140:143], v154, s[10:11] offset:3744
	global_load_b128 v[144:147], v154, s[10:11] offset:4128
	ds_load_b128 v[160:163], v152 offset:2304
	ds_load_b128 v[164:167], v152 offset:2688
	;; [unrolled: 1-line block ×6, first 2 shown]
	s_wait_loadcnt_dscnt 0x505
	v_mul_f64_e32 v[184:185], v[162:163], v[126:127]
	v_mul_f64_e32 v[186:187], v[160:161], v[126:127]
	s_wait_loadcnt_dscnt 0x404
	v_mul_f64_e32 v[188:189], v[166:167], v[130:131]
	v_mul_f64_e32 v[190:191], v[164:165], v[130:131]
	s_wait_loadcnt_dscnt 0x303
	v_mul_f64_e32 v[192:193], v[170:171], v[134:135]
	v_mul_f64_e32 v[194:195], v[168:169], v[134:135]
	s_wait_loadcnt_dscnt 0x202
	v_mul_f64_e32 v[196:197], v[174:175], v[138:139]
	v_mul_f64_e32 v[198:199], v[172:173], v[138:139]
	s_wait_loadcnt_dscnt 0x101
	v_mul_f64_e32 v[200:201], v[178:179], v[142:143]
	v_mul_f64_e32 v[202:203], v[176:177], v[142:143]
	s_wait_loadcnt_dscnt 0x0
	v_mul_f64_e32 v[204:205], v[182:183], v[146:147]
	v_mul_f64_e32 v[206:207], v[180:181], v[146:147]
	v_fma_f64 v[184:185], v[160:161], v[124:125], -v[184:185]
	v_fma_f64 v[186:187], v[162:163], v[124:125], v[186:187]
	v_fma_f64 v[188:189], v[164:165], v[128:129], -v[188:189]
	v_fma_f64 v[190:191], v[166:167], v[128:129], v[190:191]
	;; [unrolled: 2-line block ×6, first 2 shown]
	ds_load_b128 v[160:163], v153
	ds_load_b128 v[164:167], v152 offset:384
	ds_load_b128 v[168:171], v152 offset:768
	ds_load_b128 v[172:175], v152 offset:1152
	ds_load_b128 v[176:179], v152 offset:1536
	ds_load_b128 v[180:183], v152 offset:1920
	s_wait_dscnt 0x5
	v_add_f64_e64 v[184:185], v[160:161], -v[184:185]
	v_add_f64_e64 v[186:187], v[162:163], -v[186:187]
	s_wait_dscnt 0x4
	v_add_f64_e64 v[188:189], v[164:165], -v[188:189]
	v_add_f64_e64 v[190:191], v[166:167], -v[190:191]
	;; [unrolled: 3-line block ×6, first 2 shown]
	v_fma_f64 v[160:161], v[160:161], 2.0, -v[184:185]
	v_fma_f64 v[162:163], v[162:163], 2.0, -v[186:187]
	;; [unrolled: 1-line block ×12, first 2 shown]
	ds_store_b128 v153, v[160:163]
	ds_store_b128 v152, v[164:167] offset:384
	ds_store_b128 v152, v[168:171] offset:768
	;; [unrolled: 1-line block ×11, first 2 shown]
	global_wb scope:SCOPE_SE
	s_wait_dscnt 0x0
	s_barrier_signal -1
	s_barrier_wait -1
	global_inv scope:SCOPE_SE
	global_load_b128 v[160:163], v154, s[8:9] offset:4608
	s_add_nc_u64 s[8:9], s[8:9], 0x1200
	s_clause 0xa
	global_load_b128 v[164:167], v154, s[8:9] offset:768
	global_load_b128 v[168:171], v154, s[8:9] offset:1536
	;; [unrolled: 1-line block ×11, first 2 shown]
	ds_load_b128 v[208:211], v153
	s_wait_loadcnt_dscnt 0xb00
	v_mul_f64_e32 v[212:213], v[210:211], v[162:163]
	v_mul_f64_e32 v[162:163], v[208:209], v[162:163]
	s_delay_alu instid0(VALU_DEP_2) | instskip(NEXT) | instid1(VALU_DEP_2)
	v_fma_f64 v[208:209], v[208:209], v[160:161], -v[212:213]
	v_fma_f64 v[210:211], v[210:211], v[160:161], v[162:163]
	ds_store_b128 v153, v[208:211]
	ds_load_b128 v[160:163], v152 offset:768
	ds_load_b128 v[208:211], v152 offset:1536
	;; [unrolled: 1-line block ×5, first 2 shown]
	s_wait_loadcnt_dscnt 0xa04
	v_mul_f64_e32 v[224:225], v[162:163], v[166:167]
	v_mul_f64_e32 v[166:167], v[160:161], v[166:167]
	s_wait_loadcnt_dscnt 0x903
	v_mul_f64_e32 v[228:229], v[210:211], v[170:171]
	v_mul_f64_e32 v[170:171], v[208:209], v[170:171]
	;; [unrolled: 3-line block ×5, first 2 shown]
	v_fma_f64 v[160:161], v[160:161], v[164:165], -v[224:225]
	v_fma_f64 v[162:163], v[162:163], v[164:165], v[166:167]
	ds_load_b128 v[164:167], v152 offset:384
	ds_load_b128 v[224:227], v152 offset:1152
	v_fma_f64 v[208:209], v[208:209], v[168:169], -v[228:229]
	v_fma_f64 v[210:211], v[210:211], v[168:169], v[170:171]
	v_fma_f64 v[168:169], v[212:213], v[172:173], -v[230:231]
	v_fma_f64 v[170:171], v[214:215], v[172:173], v[174:175]
	ds_load_b128 v[172:175], v152 offset:1920
	v_fma_f64 v[212:213], v[216:217], v[176:177], -v[232:233]
	v_fma_f64 v[214:215], v[218:219], v[176:177], v[178:179]
	ds_load_b128 v[176:179], v152 offset:2688
	ds_load_b128 v[216:219], v152 offset:3456
	v_fma_f64 v[220:221], v[220:221], v[180:181], -v[234:235]
	v_fma_f64 v[222:223], v[222:223], v[180:181], v[182:183]
	ds_load_b128 v[180:183], v152 offset:4224
	s_wait_loadcnt_dscnt 0x505
	v_mul_f64_e32 v[228:229], v[166:167], v[186:187]
	v_mul_f64_e32 v[186:187], v[164:165], v[186:187]
	s_wait_loadcnt_dscnt 0x404
	v_mul_f64_e32 v[236:237], v[226:227], v[190:191]
	v_mul_f64_e32 v[190:191], v[224:225], v[190:191]
	s_wait_loadcnt_dscnt 0x303
	v_mul_f64_e32 v[230:231], v[174:175], v[194:195]
	v_mul_f64_e32 v[194:195], v[172:173], v[194:195]
	s_wait_loadcnt_dscnt 0x202
	v_mul_f64_e32 v[232:233], v[178:179], v[198:199]
	v_mul_f64_e32 v[198:199], v[176:177], v[198:199]
	s_wait_loadcnt_dscnt 0x0
	v_mul_f64_e32 v[234:235], v[182:183], v[206:207]
	v_mul_f64_e32 v[206:207], v[180:181], v[206:207]
	v_fma_f64 v[164:165], v[164:165], v[184:185], -v[228:229]
	v_mul_f64_e32 v[228:229], v[218:219], v[202:203]
	v_mul_f64_e32 v[202:203], v[216:217], v[202:203]
	v_fma_f64 v[166:167], v[166:167], v[184:185], v[186:187]
	v_fma_f64 v[184:185], v[224:225], v[188:189], -v[236:237]
	v_fma_f64 v[186:187], v[226:227], v[188:189], v[190:191]
	v_fma_f64 v[172:173], v[172:173], v[192:193], -v[230:231]
	;; [unrolled: 2-line block ×5, first 2 shown]
	v_fma_f64 v[190:191], v[218:219], v[200:201], v[202:203]
	ds_store_b128 v152, v[160:163] offset:768
	ds_store_b128 v152, v[164:167] offset:384
	;; [unrolled: 1-line block ×11, first 2 shown]
	global_wb scope:SCOPE_SE
	s_wait_dscnt 0x0
	s_barrier_signal -1
	s_barrier_wait -1
	global_inv scope:SCOPE_SE
	ds_load_b128 v[160:163], v152 offset:3840
	ds_load_b128 v[164:167], v152 offset:2304
	;; [unrolled: 1-line block ×6, first 2 shown]
	s_wait_dscnt 0x4
	v_add_f64_e32 v[184:185], v[166:167], v[162:163]
	v_add_f64_e32 v[200:201], v[164:165], v[160:161]
	s_wait_dscnt 0x2
	v_add_f64_e32 v[186:187], v[170:171], v[174:175]
	v_add_f64_e64 v[202:203], v[164:165], -v[160:161]
	v_add_f64_e32 v[206:207], v[168:169], v[172:173]
	v_add_f64_e64 v[208:209], v[168:169], -v[172:173]
	v_add_f64_e64 v[216:217], v[166:167], -v[162:163]
	;; [unrolled: 1-line block ×3, first 2 shown]
	s_wait_dscnt 0x1
	v_add_f64_e32 v[164:165], v[176:177], v[164:165]
	v_add_f64_e32 v[166:167], v[178:179], v[166:167]
	s_wait_dscnt 0x0
	v_add_f64_e32 v[168:169], v[180:181], v[168:169]
	v_add_f64_e32 v[170:171], v[182:183], v[170:171]
	v_fma_f64 v[204:205], v[184:185], -0.5, v[178:179]
	v_fma_f64 v[218:219], v[200:201], -0.5, v[176:177]
	;; [unrolled: 1-line block ×3, first 2 shown]
	ds_load_b128 v[184:187], v152 offset:3072
	ds_load_b128 v[188:191], v152 offset:1536
	ds_load_b128 v[192:195], v152 offset:1920
	ds_load_b128 v[196:199], v152 offset:3456
	v_fma_f64 v[230:231], v[206:207], -0.5, v[180:181]
	v_add_f64_e32 v[164:165], v[164:165], v[160:161]
	v_add_f64_e32 v[166:167], v[166:167], v[162:163]
	;; [unrolled: 1-line block ×4, first 2 shown]
	s_wait_dscnt 0x2
	v_add_f64_e32 v[212:213], v[188:189], v[184:185]
	v_add_f64_e32 v[214:215], v[190:191], v[186:187]
	s_wait_dscnt 0x0
	v_add_f64_e32 v[224:225], v[192:193], v[196:197]
	v_add_f64_e32 v[226:227], v[194:195], v[198:199]
	v_add_f64_e64 v[234:235], v[190:191], -v[186:187]
	v_add_f64_e64 v[178:179], v[194:195], -v[198:199]
	v_fma_f64 v[220:221], v[202:203], s[2:3], v[204:205]
	v_fma_f64 v[222:223], v[202:203], s[12:13], v[204:205]
	;; [unrolled: 1-line block ×4, first 2 shown]
	ds_load_b128 v[200:203], v153
	ds_load_b128 v[204:207], v152 offset:384
	global_wb scope:SCOPE_SE
	s_wait_dscnt 0x0
	s_barrier_signal -1
	s_barrier_wait -1
	global_inv scope:SCOPE_SE
	v_add_f64_e32 v[210:211], v[200:201], v[188:189]
	v_add_f64_e32 v[190:191], v[202:203], v[190:191]
	v_add_f64_e64 v[188:189], v[188:189], -v[184:185]
	v_add_f64_e32 v[176:177], v[204:205], v[192:193]
	v_add_f64_e32 v[194:195], v[206:207], v[194:195]
	v_fma_f64 v[180:181], v[212:213], -0.5, v[200:201]
	v_fma_f64 v[182:183], v[214:215], -0.5, v[202:203]
	v_fma_f64 v[200:201], v[216:217], s[12:13], v[218:219]
	v_fma_f64 v[202:203], v[216:217], s[2:3], v[218:219]
	v_add_f64_e64 v[192:193], v[192:193], -v[196:197]
	v_fma_f64 v[204:205], v[224:225], -0.5, v[204:205]
	v_fma_f64 v[206:207], v[226:227], -0.5, v[206:207]
	v_mul_f64_e32 v[212:213], s[12:13], v[220:221]
	v_mul_f64_e32 v[216:217], 0.5, v[220:221]
	v_mul_f64_e32 v[214:215], s[12:13], v[222:223]
	v_mul_f64_e32 v[218:219], -0.5, v[222:223]
	v_fma_f64 v[220:221], v[228:229], s[12:13], v[230:231]
	v_fma_f64 v[222:223], v[228:229], s[2:3], v[230:231]
	v_mul_f64_e32 v[224:225], s[12:13], v[232:233]
	v_mul_f64_e32 v[228:229], 0.5, v[232:233]
	v_mul_f64_e32 v[226:227], s[12:13], v[208:209]
	v_mul_f64_e32 v[208:209], -0.5, v[208:209]
	v_add_f64_e32 v[184:185], v[210:211], v[184:185]
	v_add_f64_e32 v[186:187], v[190:191], v[186:187]
	;; [unrolled: 1-line block ×4, first 2 shown]
	v_fma_f64 v[194:195], v[234:235], s[12:13], v[180:181]
	v_fma_f64 v[198:199], v[188:189], s[2:3], v[182:183]
	v_fma_f64 v[210:211], v[188:189], s[12:13], v[182:183]
	v_fma_f64 v[196:197], v[234:235], s[2:3], v[180:181]
	v_fma_f64 v[188:189], v[200:201], 0.5, v[212:213]
	v_fma_f64 v[200:201], v[200:201], s[2:3], v[216:217]
	v_fma_f64 v[212:213], v[202:203], -0.5, v[214:215]
	v_fma_f64 v[202:203], v[202:203], s[2:3], v[218:219]
	v_fma_f64 v[214:215], v[178:179], s[12:13], v[204:205]
	;; [unrolled: 1-line block ×3, first 2 shown]
	v_fma_f64 v[218:219], v[220:221], 0.5, v[224:225]
	v_fma_f64 v[220:221], v[220:221], s[2:3], v[228:229]
	v_fma_f64 v[204:205], v[178:179], s[2:3], v[204:205]
	;; [unrolled: 1-line block ×3, first 2 shown]
	v_fma_f64 v[224:225], v[222:223], -0.5, v[226:227]
	v_fma_f64 v[208:209], v[222:223], s[2:3], v[208:209]
	v_add_f64_e32 v[160:161], v[184:185], v[164:165]
	v_add_f64_e32 v[162:163], v[186:187], v[166:167]
	v_add_f64_e64 v[164:165], v[184:185], -v[164:165]
	v_add_f64_e64 v[166:167], v[186:187], -v[166:167]
	v_add_f64_e32 v[168:169], v[176:177], v[172:173]
	v_add_f64_e64 v[172:173], v[176:177], -v[172:173]
	v_add_f64_e32 v[170:171], v[190:191], v[174:175]
	;; [unrolled: 2-line block ×3, first 2 shown]
	v_add_f64_e32 v[178:179], v[198:199], v[200:201]
	v_add_f64_e32 v[180:181], v[196:197], v[212:213]
	;; [unrolled: 1-line block ×3, first 2 shown]
	v_add_f64_e64 v[184:185], v[194:195], -v[188:189]
	v_add_f64_e64 v[186:187], v[198:199], -v[200:201]
	;; [unrolled: 1-line block ×4, first 2 shown]
	v_add_f64_e32 v[192:193], v[214:215], v[218:219]
	v_add_f64_e32 v[194:195], v[216:217], v[220:221]
	;; [unrolled: 1-line block ×4, first 2 shown]
	v_add_f64_e64 v[200:201], v[214:215], -v[218:219]
	v_add_f64_e64 v[202:203], v[216:217], -v[220:221]
	;; [unrolled: 1-line block ×4, first 2 shown]
	ds_store_b128 v156, v[160:163]
	ds_store_b128 v156, v[164:167] offset:48
	ds_store_b128 v156, v[176:179] offset:16
	;; [unrolled: 1-line block ×5, first 2 shown]
	ds_store_b128 v155, v[168:171]
	ds_store_b128 v155, v[192:195] offset:16
	ds_store_b128 v155, v[196:199] offset:32
	;; [unrolled: 1-line block ×5, first 2 shown]
	global_wb scope:SCOPE_SE
	s_wait_dscnt 0x0
	s_barrier_signal -1
	s_barrier_wait -1
	global_inv scope:SCOPE_SE
	ds_load_b128 v[160:163], v152 offset:2304
	ds_load_b128 v[164:167], v152 offset:3840
	;; [unrolled: 1-line block ×6, first 2 shown]
	s_wait_dscnt 0x5
	v_mul_f64_e32 v[154:155], v[78:79], v[160:161]
	s_wait_dscnt 0x4
	v_mul_f64_e32 v[184:185], v[82:83], v[164:165]
	;; [unrolled: 2-line block ×5, first 2 shown]
	v_mul_f64_e32 v[78:79], v[78:79], v[162:163]
	v_mul_f64_e32 v[82:83], v[82:83], v[166:167]
	;; [unrolled: 1-line block ×5, first 2 shown]
	v_fma_f64 v[154:155], v[76:77], v[162:163], -v[154:155]
	v_fma_f64 v[162:163], v[80:81], v[166:167], -v[184:185]
	s_wait_dscnt 0x0
	v_mul_f64_e32 v[166:167], v[50:51], v[180:181]
	v_fma_f64 v[170:171], v[72:73], v[170:171], -v[186:187]
	v_fma_f64 v[174:175], v[84:85], v[174:175], -v[188:189]
	ds_load_b128 v[184:187], v152 offset:1536
	ds_load_b128 v[188:191], v152 offset:3072
	;; [unrolled: 1-line block ×4, first 2 shown]
	v_fma_f64 v[76:77], v[76:77], v[160:161], v[78:79]
	v_fma_f64 v[78:79], v[80:81], v[164:165], v[82:83]
	v_fma_f64 v[80:81], v[60:61], v[178:179], -v[200:201]
	v_mul_f64_e32 v[50:51], v[50:51], v[182:183]
	v_fma_f64 v[72:73], v[72:73], v[168:169], v[74:75]
	v_fma_f64 v[74:75], v[84:85], v[172:173], v[86:87]
	;; [unrolled: 1-line block ×3, first 2 shown]
	s_wait_dscnt 0x3
	v_mul_f64_e32 v[202:203], v[70:71], v[186:187]
	v_mul_f64_e32 v[70:71], v[70:71], v[184:185]
	s_wait_dscnt 0x2
	v_mul_f64_e32 v[204:205], v[66:67], v[190:191]
	v_mul_f64_e32 v[66:67], v[66:67], v[188:189]
	;; [unrolled: 3-line block ×4, first 2 shown]
	v_add_f64_e32 v[82:83], v[154:155], v[162:163]
	v_fma_f64 v[84:85], v[48:49], v[182:183], -v[166:167]
	v_add_f64_e32 v[86:87], v[170:171], v[174:175]
	v_add_f64_e32 v[62:63], v[76:77], v[78:79]
	v_fma_f64 v[168:169], v[48:49], v[180:181], v[50:51]
	v_add_f64_e64 v[180:181], v[154:155], -v[162:163]
	v_add_f64_e64 v[172:173], v[72:73], -v[74:75]
	ds_load_b128 v[48:51], v153
	v_fma_f64 v[166:167], v[68:69], v[184:185], v[202:203]
	v_fma_f64 v[68:69], v[68:69], v[186:187], -v[70:71]
	v_fma_f64 v[70:71], v[64:65], v[188:189], v[204:205]
	v_fma_f64 v[64:65], v[64:65], v[190:191], -v[66:67]
	v_add_f64_e64 v[66:67], v[76:77], -v[78:79]
	v_fma_f64 v[160:161], v[56:57], v[192:193], v[160:161]
	v_fma_f64 v[56:57], v[56:57], v[194:195], -v[58:59]
	v_fma_f64 v[58:59], v[52:53], v[196:197], v[164:165]
	v_fma_f64 v[164:165], v[52:53], v[198:199], -v[54:55]
	v_add_f64_e32 v[52:53], v[72:73], v[74:75]
	v_add_f64_e64 v[186:187], v[170:171], -v[174:175]
	v_fma_f64 v[82:83], v[82:83], -0.5, v[80:81]
	v_fma_f64 v[86:87], v[86:87], -0.5, v[84:85]
	v_add_f64_e32 v[84:85], v[84:85], v[170:171]
	v_fma_f64 v[62:63], v[62:63], -0.5, v[60:61]
	v_add_f64_e32 v[60:61], v[60:61], v[76:77]
	v_add_f64_e32 v[76:77], v[80:81], v[154:155]
	;; [unrolled: 1-line block ×5, first 2 shown]
	v_add_f64_e64 v[192:193], v[68:69], -v[64:65]
	v_add_f64_e32 v[184:185], v[56:57], v[164:165]
	v_fma_f64 v[188:189], v[52:53], -0.5, v[168:169]
	ds_load_b128 v[52:55], v152 offset:384
	s_wait_dscnt 0x1
	v_add_f64_e32 v[68:69], v[50:51], v[68:69]
	v_add_f64_e64 v[154:155], v[56:57], -v[164:165]
	global_wb scope:SCOPE_SE
	s_wait_dscnt 0x0
	s_barrier_signal -1
	s_barrier_wait -1
	global_inv scope:SCOPE_SE
	v_fma_f64 v[182:183], v[66:67], s[2:3], v[82:83]
	v_fma_f64 v[66:67], v[66:67], s[12:13], v[82:83]
	v_add_f64_e32 v[82:83], v[160:161], v[58:59]
	v_fma_f64 v[190:191], v[172:173], s[2:3], v[86:87]
	v_fma_f64 v[86:87], v[172:173], s[12:13], v[86:87]
	v_add_f64_e32 v[172:173], v[48:49], v[166:167]
	v_add_f64_e64 v[166:167], v[166:167], -v[70:71]
	v_fma_f64 v[168:169], v[180:181], s[12:13], v[62:63]
	v_fma_f64 v[62:63], v[180:181], s[2:3], v[62:63]
	v_add_f64_e32 v[60:61], v[60:61], v[78:79]
	v_add_f64_e32 v[72:73], v[72:73], v[74:75]
	v_add_f64_e32 v[74:75], v[84:85], v[174:175]
	v_add_f64_e32 v[80:81], v[52:53], v[160:161]
	v_add_f64_e32 v[56:57], v[54:55], v[56:57]
	v_add_f64_e64 v[160:161], v[160:161], -v[58:59]
	v_fma_f64 v[48:49], v[176:177], -0.5, v[48:49]
	v_fma_f64 v[50:51], v[178:179], -0.5, v[50:51]
	;; [unrolled: 1-line block ×3, first 2 shown]
	v_fma_f64 v[180:181], v[186:187], s[2:3], v[188:189]
	v_add_f64_e32 v[64:65], v[68:69], v[64:65]
	v_add_f64_e32 v[68:69], v[76:77], v[162:163]
	v_mul_f64_e32 v[170:171], s[12:13], v[182:183]
	v_mul_f64_e32 v[178:179], 0.5, v[182:183]
	v_mul_f64_e32 v[176:177], s[12:13], v[66:67]
	v_mul_f64_e32 v[66:67], -0.5, v[66:67]
	v_fma_f64 v[52:53], v[82:83], -0.5, v[52:53]
	v_fma_f64 v[82:83], v[186:187], s[12:13], v[188:189]
	v_mul_f64_e32 v[182:183], s[12:13], v[190:191]
	v_mul_f64_e32 v[184:185], s[12:13], v[86:87]
	v_mul_f64_e32 v[186:187], 0.5, v[190:191]
	v_mul_f64_e32 v[86:87], -0.5, v[86:87]
	v_add_f64_e32 v[70:71], v[172:173], v[70:71]
	v_add_f64_e32 v[76:77], v[80:81], v[58:59]
	;; [unrolled: 1-line block ×3, first 2 shown]
	v_fma_f64 v[80:81], v[192:193], s[12:13], v[48:49]
	v_fma_f64 v[162:163], v[166:167], s[2:3], v[50:51]
	;; [unrolled: 1-line block ×4, first 2 shown]
	v_add_f64_e32 v[50:51], v[64:65], v[68:69]
	v_fma_f64 v[166:167], v[168:169], 0.5, v[170:171]
	v_fma_f64 v[168:169], v[168:169], s[2:3], v[178:179]
	v_fma_f64 v[170:171], v[62:63], -0.5, v[176:177]
	v_fma_f64 v[172:173], v[62:63], s[2:3], v[66:67]
	v_fma_f64 v[174:175], v[154:155], s[12:13], v[52:53]
	;; [unrolled: 1-line block ×4, first 2 shown]
	v_fma_f64 v[160:161], v[82:83], 0.5, v[182:183]
	v_fma_f64 v[182:183], v[180:181], -0.5, v[184:185]
	v_fma_f64 v[184:185], v[82:83], s[2:3], v[186:187]
	v_fma_f64 v[154:155], v[154:155], s[2:3], v[52:53]
	;; [unrolled: 1-line block ×3, first 2 shown]
	v_add_f64_e32 v[48:49], v[70:71], v[60:61]
	v_add_f64_e64 v[52:53], v[70:71], -v[60:61]
	v_add_f64_e64 v[54:55], v[64:65], -v[68:69]
	v_add_f64_e32 v[56:57], v[76:77], v[72:73]
	v_add_f64_e32 v[58:59], v[78:79], v[74:75]
	v_add_f64_e64 v[60:61], v[76:77], -v[72:73]
	v_add_f64_e64 v[62:63], v[78:79], -v[74:75]
	s_mul_u64 s[2:3], s[4:5], 0x300
	v_add_f64_e32 v[64:65], v[80:81], v[166:167]
	v_add_f64_e32 v[66:67], v[162:163], v[168:169]
	;; [unrolled: 1-line block ×4, first 2 shown]
	v_add_f64_e64 v[72:73], v[80:81], -v[166:167]
	v_add_f64_e64 v[74:75], v[162:163], -v[168:169]
	;; [unrolled: 1-line block ×4, first 2 shown]
	v_add_f64_e32 v[80:81], v[174:175], v[160:161]
	v_add_f64_e32 v[82:83], v[176:177], v[184:185]
	;; [unrolled: 1-line block ×4, first 2 shown]
	v_add_f64_e64 v[160:161], v[174:175], -v[160:161]
	v_add_f64_e64 v[162:163], v[176:177], -v[184:185]
	;; [unrolled: 1-line block ×4, first 2 shown]
	ds_store_b128 v159, v[48:51]
	ds_store_b128 v159, v[52:55] offset:288
	ds_store_b128 v159, v[64:67] offset:96
	ds_store_b128 v159, v[68:71] offset:192
	ds_store_b128 v159, v[72:75] offset:384
	ds_store_b128 v159, v[76:79] offset:480
	ds_store_b128 v158, v[56:59]
	ds_store_b128 v158, v[80:83] offset:96
	ds_store_b128 v158, v[84:87] offset:192
	ds_store_b128 v158, v[60:63] offset:288
	ds_store_b128 v158, v[160:163] offset:384
	ds_store_b128 v158, v[164:167] offset:480
	global_wb scope:SCOPE_SE
	s_wait_dscnt 0x0
	s_barrier_signal -1
	s_barrier_wait -1
	global_inv scope:SCOPE_SE
	ds_load_b128 v[48:51], v152 offset:1152
	ds_load_b128 v[52:55], v152 offset:2304
	;; [unrolled: 1-line block ×9, first 2 shown]
	s_wait_dscnt 0x8
	v_mul_f64_e32 v[84:85], v[98:99], v[50:51]
	v_mul_f64_e32 v[86:87], v[98:99], v[48:49]
	s_wait_dscnt 0x7
	v_mul_f64_e32 v[98:99], v[94:95], v[54:55]
	v_mul_f64_e32 v[94:95], v[94:95], v[52:53]
	;; [unrolled: 3-line block ×9, first 2 shown]
	v_fma_f64 v[84:85], v[96:97], v[48:49], v[84:85]
	v_fma_f64 v[86:87], v[96:97], v[50:51], -v[86:87]
	v_fma_f64 v[96:97], v[92:93], v[52:53], v[98:99]
	v_fma_f64 v[92:93], v[92:93], v[54:55], -v[94:95]
	v_fma_f64 v[94:95], v[88:89], v[56:57], v[154:155]
	v_fma_f64 v[88:89], v[88:89], v[58:59], -v[90:91]
	v_fma_f64 v[60:61], v[108:109], v[60:61], v[158:159]
	v_fma_f64 v[62:63], v[108:109], v[62:63], -v[110:111]
	v_fma_f64 v[64:65], v[104:105], v[64:65], v[160:161]
	v_fma_f64 v[66:67], v[104:105], v[66:67], -v[106:107]
	v_fma_f64 v[68:69], v[100:101], v[68:69], v[162:163]
	v_fma_f64 v[70:71], v[100:101], v[70:71], -v[102:103]
	v_fma_f64 v[72:73], v[120:121], v[72:73], v[164:165]
	v_fma_f64 v[74:75], v[120:121], v[74:75], -v[122:123]
	v_fma_f64 v[76:77], v[116:117], v[76:77], v[166:167]
	v_fma_f64 v[78:79], v[116:117], v[78:79], -v[118:119]
	v_fma_f64 v[80:81], v[112:113], v[80:81], v[168:169]
	v_fma_f64 v[82:83], v[112:113], v[82:83], -v[114:115]
	ds_load_b128 v[48:51], v153
	ds_load_b128 v[52:55], v152 offset:384
	ds_load_b128 v[56:59], v152 offset:768
	global_wb scope:SCOPE_SE
	s_wait_dscnt 0x0
	s_barrier_signal -1
	s_barrier_wait -1
	global_inv scope:SCOPE_SE
	v_add_f64_e64 v[90:91], v[48:49], -v[96:97]
	v_add_f64_e64 v[92:93], v[50:51], -v[92:93]
	;; [unrolled: 1-line block ×12, first 2 shown]
	v_fma_f64 v[78:79], v[48:49], 2.0, -v[90:91]
	v_fma_f64 v[80:81], v[50:51], 2.0, -v[92:93]
	;; [unrolled: 1-line block ×4, first 2 shown]
	v_add_f64_e32 v[48:49], v[90:91], v[88:89]
	v_fma_f64 v[82:83], v[52:53], 2.0, -v[96:97]
	v_fma_f64 v[86:87], v[54:55], 2.0, -v[98:99]
	;; [unrolled: 1-line block ×8, first 2 shown]
	v_add_f64_e32 v[56:57], v[96:97], v[66:67]
	v_add_f64_e64 v[58:59], v[98:99], -v[64:65]
	v_add_f64_e32 v[64:65], v[100:101], v[68:69]
	v_add_f64_e64 v[66:67], v[102:103], -v[76:77]
	v_add_f64_e64 v[52:53], v[78:79], -v[50:51]
	;; [unrolled: 1-line block ×8, first 2 shown]
	v_fma_f64 v[72:73], v[90:91], 2.0, -v[48:49]
	v_fma_f64 v[88:89], v[100:101], 2.0, -v[64:65]
	;; [unrolled: 1-line block ×7, first 2 shown]
	v_mad_co_u64_u32 v[96:97], null, s6, v148, 0
	v_fma_f64 v[84:85], v[82:83], 2.0, -v[60:61]
	v_fma_f64 v[86:87], v[86:87], 2.0, -v[62:63]
	;; [unrolled: 1-line block ×3, first 2 shown]
	v_mad_co_u64_u32 v[98:99], null, s4, v151, 0
	s_mul_i32 s6, s5, 0x600
	v_fma_f64 v[92:93], v[104:105], 2.0, -v[68:69]
	v_fma_f64 v[94:95], v[106:107], 2.0, -v[70:71]
	ds_store_b128 v153, v[76:79]
	ds_store_b128 v152, v[72:75] offset:576
	ds_store_b128 v152, v[52:55] offset:1152
	;; [unrolled: 1-line block ×3, first 2 shown]
	ds_store_b128 v157, v[84:87]
	ds_store_b128 v157, v[80:83] offset:576
	ds_store_b128 v157, v[60:63] offset:1152
	;; [unrolled: 1-line block ×7, first 2 shown]
	global_wb scope:SCOPE_SE
	s_wait_dscnt 0x0
	s_barrier_signal -1
	s_barrier_wait -1
	global_inv scope:SCOPE_SE
	ds_load_b128 v[48:51], v152 offset:2304
	ds_load_b128 v[52:55], v152 offset:2688
	;; [unrolled: 1-line block ×6, first 2 shown]
	v_mad_co_u64_u32 v[100:101], null, s7, v148, v[97:98]
	s_delay_alu instid0(VALU_DEP_1)
	v_mad_co_u64_u32 v[101:102], null, s5, v151, v[99:100]
	v_mov_b32_e32 v97, v100
	v_mad_co_u64_u32 v[102:103], null, s4, v150, 0
	s_wait_dscnt 0x5
	v_mul_f64_e32 v[72:73], v[126:127], v[50:51]
	v_mul_f64_e32 v[74:75], v[126:127], v[48:49]
	s_wait_dscnt 0x4
	v_mul_f64_e32 v[76:77], v[130:131], v[54:55]
	v_mul_f64_e32 v[78:79], v[130:131], v[52:53]
	;; [unrolled: 3-line block ×6, first 2 shown]
	v_mov_b32_e32 v99, v101
	v_lshlrev_b64_e32 v[96:97], 4, v[96:97]
	s_delay_alu instid0(VALU_DEP_2) | instskip(NEXT) | instid1(VALU_DEP_2)
	v_lshlrev_b64_e32 v[98:99], 4, v[98:99]
	v_add_co_u32 v135, vcc_lo, s0, v96
	v_fma_f64 v[72:73], v[124:125], v[48:49], v[72:73]
	v_fma_f64 v[74:75], v[124:125], v[50:51], -v[74:75]
	v_fma_f64 v[76:77], v[128:129], v[52:53], v[76:77]
	v_fma_f64 v[78:79], v[128:129], v[54:55], -v[78:79]
	;; [unrolled: 2-line block ×6, first 2 shown]
	ds_load_b128 v[48:51], v153
	ds_load_b128 v[52:55], v152 offset:384
	ds_load_b128 v[56:59], v152 offset:768
	;; [unrolled: 1-line block ×5, first 2 shown]
	s_wait_alu 0xfffd
	v_add_co_ci_u32_e32 v136, vcc_lo, s1, v97, vcc_lo
	v_add_co_u32 v98, vcc_lo, v135, v98
	s_mov_b32 s0, 0x1c71c71c
	s_wait_alu 0xfffd
	s_delay_alu instid0(VALU_DEP_2)
	v_add_co_ci_u32_e32 v99, vcc_lo, v136, v99, vcc_lo
	s_wait_alu 0xfffe
	v_add_co_u32 v100, vcc_lo, v98, s2
	s_mov_b32 s1, 0x3f6c71c7
	s_wait_alu 0xfffd
	v_add_co_ci_u32_e32 v101, vcc_lo, s3, v99, vcc_lo
	v_mad_co_u64_u32 v[96:97], null, s4, v149, 0
	s_delay_alu instid0(VALU_DEP_2) | instskip(NEXT) | instid1(VALU_DEP_2)
	v_mad_co_u64_u32 v[104:105], null, 0x600, s4, v[100:101]
	v_mad_co_u64_u32 v[132:133], null, s5, v149, v[97:98]
	s_delay_alu instid0(VALU_DEP_2) | instskip(NEXT) | instid1(VALU_DEP_3)
	v_add_nc_u32_e32 v105, s6, v105
	v_mad_co_u64_u32 v[133:134], null, s5, v150, v[103:104]
	s_wait_dscnt 0x5
	v_add_f64_e64 v[72:73], v[48:49], -v[72:73]
	v_add_f64_e64 v[74:75], v[50:51], -v[74:75]
	s_wait_dscnt 0x4
	v_add_f64_e64 v[76:77], v[52:53], -v[76:77]
	v_add_f64_e64 v[78:79], v[54:55], -v[78:79]
	;; [unrolled: 3-line block ×6, first 2 shown]
	v_mad_co_u64_u32 v[130:131], null, 0x600, s4, v[104:105]
	s_mulk_i32 s5, 0xf280
	v_mov_b32_e32 v97, v132
	v_mov_b32_e32 v103, v133
	s_delay_alu instid0(VALU_DEP_3)
	v_add_nc_u32_e32 v131, s6, v131
	v_fma_f64 v[48:49], v[48:49], 2.0, -v[72:73]
	v_fma_f64 v[50:51], v[50:51], 2.0, -v[74:75]
	;; [unrolled: 1-line block ×12, first 2 shown]
	ds_store_b128 v153, v[48:51]
	ds_store_b128 v152, v[52:55] offset:384
	ds_store_b128 v152, v[56:59] offset:768
	;; [unrolled: 1-line block ×11, first 2 shown]
	global_wb scope:SCOPE_SE
	s_wait_dscnt 0x0
	s_barrier_signal -1
	s_barrier_wait -1
	global_inv scope:SCOPE_SE
	ds_load_b128 v[48:51], v153
	ds_load_b128 v[52:55], v152 offset:768
	ds_load_b128 v[56:59], v152 offset:1536
	;; [unrolled: 1-line block ×11, first 2 shown]
	s_wait_dscnt 0xb
	v_mul_f64_e32 v[106:107], v[10:11], v[50:51]
	v_mul_f64_e32 v[10:11], v[10:11], v[48:49]
	s_wait_dscnt 0xa
	v_mul_f64_e32 v[108:109], v[22:23], v[54:55]
	v_mul_f64_e32 v[22:23], v[22:23], v[52:53]
	;; [unrolled: 3-line block ×12, first 2 shown]
	v_fma_f64 v[48:49], v[8:9], v[48:49], v[106:107]
	v_fma_f64 v[8:9], v[8:9], v[50:51], -v[10:11]
	v_fma_f64 v[10:11], v[20:21], v[52:53], v[108:109]
	v_fma_f64 v[20:21], v[20:21], v[54:55], -v[22:23]
	;; [unrolled: 2-line block ×12, first 2 shown]
	v_mad_co_u64_u32 v[74:75], null, 0xfffff280, s4, v[130:131]
	s_wait_alu 0xfffe
	s_sub_co_i32 s4, s5, s4
	v_lshlrev_b64_e32 v[76:77], 4, v[96:97]
	v_lshlrev_b64_e32 v[78:79], 4, v[102:103]
	s_wait_alu 0xfffe
	s_delay_alu instid0(VALU_DEP_3) | instskip(NEXT) | instid1(VALU_DEP_4)
	v_add_nc_u32_e32 v75, s4, v75
	v_add_co_u32 v80, vcc_lo, v74, s2
	s_wait_alu 0xfffd
	s_delay_alu instid0(VALU_DEP_2)
	v_add_co_ci_u32_e32 v81, vcc_lo, s3, v75, vcc_lo
	v_mul_f64_e32 v[0:1], s[0:1], v[48:49]
	v_mul_f64_e32 v[2:3], s[0:1], v[8:9]
	;; [unrolled: 1-line block ×24, first 2 shown]
	v_add_co_u32 v50, s0, v80, s2
	s_wait_alu 0xf1ff
	v_add_co_ci_u32_e64 v51, s0, s3, v81, s0
	v_add_co_u32 v48, vcc_lo, v135, v76
	s_delay_alu instid0(VALU_DEP_3) | instskip(SKIP_1) | instid1(VALU_DEP_3)
	v_add_co_u32 v54, s1, v50, s2
	s_wait_alu 0xf1ff
	v_add_co_ci_u32_e64 v55, s1, s3, v51, s1
	s_wait_alu 0xfffd
	v_add_co_ci_u32_e32 v49, vcc_lo, v136, v77, vcc_lo
	v_add_co_u32 v56, vcc_lo, v54, s2
	v_add_co_u32 v52, s0, v135, v78
	s_wait_alu 0xfffd
	v_add_co_ci_u32_e32 v57, vcc_lo, s3, v55, vcc_lo
	s_wait_alu 0xf1ff
	v_add_co_ci_u32_e64 v53, vcc_lo, v136, v79, s0
	v_add_co_u32 v58, vcc_lo, v56, s2
	s_wait_alu 0xfffd
	v_add_co_ci_u32_e32 v59, vcc_lo, s3, v57, vcc_lo
	s_clause 0x6
	global_store_b128 v[98:99], v[0:3], off
	global_store_b128 v[100:101], v[4:7], off
	;; [unrolled: 1-line block ×12, first 2 shown]
.LBB0_2:
	s_nop 0
	s_sendmsg sendmsg(MSG_DEALLOC_VGPRS)
	s_endpgm
	.section	.rodata,"a",@progbits
	.p2align	6, 0x0
	.amdhsa_kernel bluestein_single_back_len288_dim1_dp_op_CI_CI
		.amdhsa_group_segment_fixed_size 23040
		.amdhsa_private_segment_fixed_size 0
		.amdhsa_kernarg_size 104
		.amdhsa_user_sgpr_count 2
		.amdhsa_user_sgpr_dispatch_ptr 0
		.amdhsa_user_sgpr_queue_ptr 0
		.amdhsa_user_sgpr_kernarg_segment_ptr 1
		.amdhsa_user_sgpr_dispatch_id 0
		.amdhsa_user_sgpr_private_segment_size 0
		.amdhsa_wavefront_size32 1
		.amdhsa_uses_dynamic_stack 0
		.amdhsa_enable_private_segment 0
		.amdhsa_system_sgpr_workgroup_id_x 1
		.amdhsa_system_sgpr_workgroup_id_y 0
		.amdhsa_system_sgpr_workgroup_id_z 0
		.amdhsa_system_sgpr_workgroup_info 0
		.amdhsa_system_vgpr_workitem_id 0
		.amdhsa_next_free_vgpr 238
		.amdhsa_next_free_sgpr 20
		.amdhsa_reserve_vcc 1
		.amdhsa_float_round_mode_32 0
		.amdhsa_float_round_mode_16_64 0
		.amdhsa_float_denorm_mode_32 3
		.amdhsa_float_denorm_mode_16_64 3
		.amdhsa_fp16_overflow 0
		.amdhsa_workgroup_processor_mode 1
		.amdhsa_memory_ordered 1
		.amdhsa_forward_progress 0
		.amdhsa_round_robin_scheduling 0
		.amdhsa_exception_fp_ieee_invalid_op 0
		.amdhsa_exception_fp_denorm_src 0
		.amdhsa_exception_fp_ieee_div_zero 0
		.amdhsa_exception_fp_ieee_overflow 0
		.amdhsa_exception_fp_ieee_underflow 0
		.amdhsa_exception_fp_ieee_inexact 0
		.amdhsa_exception_int_div_zero 0
	.end_amdhsa_kernel
	.text
.Lfunc_end0:
	.size	bluestein_single_back_len288_dim1_dp_op_CI_CI, .Lfunc_end0-bluestein_single_back_len288_dim1_dp_op_CI_CI
                                        ; -- End function
	.section	.AMDGPU.csdata,"",@progbits
; Kernel info:
; codeLenInByte = 10908
; NumSgprs: 22
; NumVgprs: 238
; ScratchSize: 0
; MemoryBound: 0
; FloatMode: 240
; IeeeMode: 1
; LDSByteSize: 23040 bytes/workgroup (compile time only)
; SGPRBlocks: 2
; VGPRBlocks: 29
; NumSGPRsForWavesPerEU: 22
; NumVGPRsForWavesPerEU: 238
; Occupancy: 5
; WaveLimiterHint : 1
; COMPUTE_PGM_RSRC2:SCRATCH_EN: 0
; COMPUTE_PGM_RSRC2:USER_SGPR: 2
; COMPUTE_PGM_RSRC2:TRAP_HANDLER: 0
; COMPUTE_PGM_RSRC2:TGID_X_EN: 1
; COMPUTE_PGM_RSRC2:TGID_Y_EN: 0
; COMPUTE_PGM_RSRC2:TGID_Z_EN: 0
; COMPUTE_PGM_RSRC2:TIDIG_COMP_CNT: 0
	.text
	.p2alignl 7, 3214868480
	.fill 96, 4, 3214868480
	.type	__hip_cuid_3dcc32ca3455c04d,@object ; @__hip_cuid_3dcc32ca3455c04d
	.section	.bss,"aw",@nobits
	.globl	__hip_cuid_3dcc32ca3455c04d
__hip_cuid_3dcc32ca3455c04d:
	.byte	0                               ; 0x0
	.size	__hip_cuid_3dcc32ca3455c04d, 1

	.ident	"AMD clang version 19.0.0git (https://github.com/RadeonOpenCompute/llvm-project roc-6.4.0 25133 c7fe45cf4b819c5991fe208aaa96edf142730f1d)"
	.section	".note.GNU-stack","",@progbits
	.addrsig
	.addrsig_sym __hip_cuid_3dcc32ca3455c04d
	.amdgpu_metadata
---
amdhsa.kernels:
  - .args:
      - .actual_access:  read_only
        .address_space:  global
        .offset:         0
        .size:           8
        .value_kind:     global_buffer
      - .actual_access:  read_only
        .address_space:  global
        .offset:         8
        .size:           8
        .value_kind:     global_buffer
      - .actual_access:  read_only
        .address_space:  global
        .offset:         16
        .size:           8
        .value_kind:     global_buffer
      - .actual_access:  read_only
        .address_space:  global
        .offset:         24
        .size:           8
        .value_kind:     global_buffer
      - .actual_access:  read_only
        .address_space:  global
        .offset:         32
        .size:           8
        .value_kind:     global_buffer
      - .offset:         40
        .size:           8
        .value_kind:     by_value
      - .address_space:  global
        .offset:         48
        .size:           8
        .value_kind:     global_buffer
      - .address_space:  global
        .offset:         56
        .size:           8
        .value_kind:     global_buffer
      - .address_space:  global
        .offset:         64
        .size:           8
        .value_kind:     global_buffer
      - .address_space:  global
        .offset:         72
        .size:           8
        .value_kind:     global_buffer
      - .offset:         80
        .size:           4
        .value_kind:     by_value
      - .address_space:  global
        .offset:         88
        .size:           8
        .value_kind:     global_buffer
      - .address_space:  global
        .offset:         96
        .size:           8
        .value_kind:     global_buffer
    .group_segment_fixed_size: 23040
    .kernarg_segment_align: 8
    .kernarg_segment_size: 104
    .language:       OpenCL C
    .language_version:
      - 2
      - 0
    .max_flat_workgroup_size: 120
    .name:           bluestein_single_back_len288_dim1_dp_op_CI_CI
    .private_segment_fixed_size: 0
    .sgpr_count:     22
    .sgpr_spill_count: 0
    .symbol:         bluestein_single_back_len288_dim1_dp_op_CI_CI.kd
    .uniform_work_group_size: 1
    .uses_dynamic_stack: false
    .vgpr_count:     238
    .vgpr_spill_count: 0
    .wavefront_size: 32
    .workgroup_processor_mode: 1
amdhsa.target:   amdgcn-amd-amdhsa--gfx1201
amdhsa.version:
  - 1
  - 2
...

	.end_amdgpu_metadata
